;; amdgpu-corpus repo=zjin-lcf/HeCBench kind=compiled arch=gfx90a opt=O3
	.text
	.amdgcn_target "amdgcn-amd-amdhsa--gfx90a"
	.amdhsa_code_object_version 6
	.section	.text._Z6kernelIfLi1ELi16ELi96ELi3ELi4ELi16EEvT_S0_iiPKS0_S2_PS0_S3_,"axG",@progbits,_Z6kernelIfLi1ELi16ELi96ELi3ELi4ELi16EEvT_S0_iiPKS0_S2_PS0_S3_,comdat
	.protected	_Z6kernelIfLi1ELi16ELi96ELi3ELi4ELi16EEvT_S0_iiPKS0_S2_PS0_S3_ ; -- Begin function _Z6kernelIfLi1ELi16ELi96ELi3ELi4ELi16EEvT_S0_iiPKS0_S2_PS0_S3_
	.globl	_Z6kernelIfLi1ELi16ELi96ELi3ELi4ELi16EEvT_S0_iiPKS0_S2_PS0_S3_
	.p2align	8
	.type	_Z6kernelIfLi1ELi16ELi96ELi3ELi4ELi16EEvT_S0_iiPKS0_S2_PS0_S3_,@function
_Z6kernelIfLi1ELi16ELi96ELi3ELi4ELi16EEvT_S0_iiPKS0_S2_PS0_S3_: ; @_Z6kernelIfLi1ELi16ELi96ELi3ELi4ELi16EEvT_S0_iiPKS0_S2_PS0_S3_
; %bb.0:
	s_load_dwordx4 s[20:23], s[4:5], 0x0
	s_load_dwordx4 s[16:19], s[4:5], 0x20
	v_and_b32_e32 v8, 0x3ff, v0
	v_mad_u64_u32 v[6:7], s[0:1], s6, 10, v[8:9]
	v_add_u32_e32 v12, -3, v6
	s_mul_i32 s14, s7, 0x58
	v_bfe_u32 v3, v0, 10, 10
	v_cmp_lt_i32_e64 s[6:7], -1, v12
	s_waitcnt lgkmcnt(0)
	v_cmp_gt_i32_e64 s[12:13], s22, v12
	v_add_u32_e32 v7, s14, v3
	s_and_b64 s[0:1], s[6:7], s[12:13]
	s_and_saveexec_b64 s[2:3], s[0:1]
	s_cbranch_execz .LBB0_13
; %bb.1:
	s_load_dwordx4 s[8:11], s[4:5], 0x10
	v_add_u32_e32 v2, -4, v7
	v_mad_u64_u32 v[0:1], s[0:1], v2, s22, v[12:13]
	v_cmp_lt_i32_e32 vcc, -1, v2
	v_cmp_gt_i32_e64 s[0:1], s23, v2
	s_and_b64 s[4:5], vcc, s[0:1]
	s_and_saveexec_b64 s[0:1], s[4:5]
	s_cbranch_execz .LBB0_3
; %bb.2:
	v_ashrrev_i32_e32 v1, 31, v0
	v_lshlrev_b64 v[4:5], 2, v[0:1]
	s_waitcnt lgkmcnt(0)
	v_mov_b32_e32 v1, s11
	v_add_co_u32_e32 v10, vcc, s10, v4
	v_addc_co_u32_e32 v11, vcc, v1, v5, vcc
	v_mov_b32_e32 v1, s9
	v_add_co_u32_e32 v4, vcc, s8, v4
	v_addc_co_u32_e32 v5, vcc, v1, v5, vcc
	global_load_dword v1, v[4:5], off
	global_load_dword v2, v[10:11], off
	v_lshlrev_b32_e32 v4, 2, v8
	v_lshl_add_u32 v4, v3, 6, v4
	s_waitcnt vmcnt(0)
	ds_write2st64_b32 v4, v2, v1 offset1:24
.LBB0_3:
	s_or_b64 exec, exec, s[0:1]
	v_add_u32_e32 v1, 12, v7
	s_lshl_b32 s4, s22, 4
	v_cmp_lt_i32_e32 vcc, -1, v1
	v_cmp_gt_i32_e64 s[0:1], s23, v1
	v_add_u32_e32 v0, s4, v0
	s_and_b64 s[24:25], vcc, s[0:1]
	s_and_saveexec_b64 s[0:1], s[24:25]
	s_cbranch_execz .LBB0_5
; %bb.4:
	v_ashrrev_i32_e32 v1, 31, v0
	v_lshlrev_b64 v[4:5], 2, v[0:1]
	s_waitcnt lgkmcnt(0)
	v_mov_b32_e32 v1, s11
	v_add_co_u32_e32 v10, vcc, s10, v4
	v_addc_co_u32_e32 v11, vcc, v1, v5, vcc
	v_mov_b32_e32 v1, s9
	v_add_co_u32_e32 v4, vcc, s8, v4
	v_addc_co_u32_e32 v5, vcc, v1, v5, vcc
	global_load_dword v1, v[4:5], off
	global_load_dword v2, v[10:11], off
	v_lshlrev_b32_e32 v4, 2, v8
	v_lshl_add_u32 v4, v3, 6, v4
	s_waitcnt vmcnt(0)
	ds_write2st64_b32 v4, v2, v1 offset0:4 offset1:28
.LBB0_5:
	s_or_b64 exec, exec, s[0:1]
	v_add_u32_e32 v1, 28, v7
	v_cmp_lt_i32_e32 vcc, -1, v1
	v_cmp_gt_i32_e64 s[0:1], s23, v1
	v_add_u32_e32 v0, s4, v0
	s_and_b64 s[24:25], vcc, s[0:1]
	s_and_saveexec_b64 s[0:1], s[24:25]
	s_cbranch_execz .LBB0_7
; %bb.6:
	v_ashrrev_i32_e32 v1, 31, v0
	v_lshlrev_b64 v[4:5], 2, v[0:1]
	s_waitcnt lgkmcnt(0)
	v_mov_b32_e32 v1, s11
	v_add_co_u32_e32 v10, vcc, s10, v4
	v_addc_co_u32_e32 v11, vcc, v1, v5, vcc
	v_mov_b32_e32 v1, s9
	v_add_co_u32_e32 v4, vcc, s8, v4
	v_addc_co_u32_e32 v5, vcc, v1, v5, vcc
	global_load_dword v1, v[4:5], off
	global_load_dword v2, v[10:11], off
	v_lshlrev_b32_e32 v4, 2, v8
	v_lshl_add_u32 v4, v3, 6, v4
	s_waitcnt vmcnt(0)
	ds_write2st64_b32 v4, v2, v1 offset0:8 offset1:32
.LBB0_7:
	s_or_b64 exec, exec, s[0:1]
	v_add_u32_e32 v1, 44, v7
	;; [unrolled: 25-line block ×4, first 2 shown]
	v_cmp_lt_i32_e32 vcc, -1, v1
	v_cmp_gt_i32_e64 s[0:1], s23, v1
	s_and_b64 s[0:1], vcc, s[0:1]
	s_and_b64 exec, exec, s[0:1]
	s_cbranch_execz .LBB0_13
; %bb.12:
	v_add_u32_e32 v0, s4, v0
	v_ashrrev_i32_e32 v1, 31, v0
	v_lshlrev_b64 v[0:1], 2, v[0:1]
	s_waitcnt lgkmcnt(0)
	v_mov_b32_e32 v2, s11
	v_add_co_u32_e32 v4, vcc, s10, v0
	v_addc_co_u32_e32 v5, vcc, v2, v1, vcc
	v_mov_b32_e32 v2, s9
	v_add_co_u32_e32 v0, vcc, s8, v0
	v_addc_co_u32_e32 v1, vcc, v2, v1, vcc
	global_load_dword v2, v[0:1], off
	global_load_dword v9, v[4:5], off
	v_lshlrev_b32_e32 v0, 2, v8
	v_lshl_add_u32 v0, v3, 6, v0
	s_waitcnt vmcnt(0)
	ds_write2st64_b32 v0, v9, v2 offset0:20 offset1:44
.LBB0_13:
	s_or_b64 exec, exec, s[2:3]
	v_lshlrev_b32_e32 v0, 1, v3
	v_and_b32_e32 v2, 1, v8
	v_or_b32_e32 v1, 1, v0
	v_sub_u32_e32 v0, v0, v2
	v_lshlrev_b32_e32 v9, 2, v8
	v_lshl_add_u32 v13, v0, 6, v9
	v_add_u32_e32 v0, 64, v13
	s_waitcnt lgkmcnt(0)
	s_barrier
	ds_read2st64_b32 v[4:5], v0 offset0:16 offset1:24
	ds_read2st64_b32 v[16:17], v0 offset0:32 offset1:40
	ds_read2st64_b32 v[10:11], v0 offset1:8
	v_sub_u32_e32 v15, v1, v2
	v_add_u32_e32 v14, 0x1800, v13
	s_waitcnt lgkmcnt(2)
	v_mov_b32_e32 v0, v5
	s_waitcnt lgkmcnt(1)
	v_mov_b32_e32 v1, v16
	v_add3_u32 v16, s14, -4, v15
	v_mov_b32_e32 v2, v17
	s_add_i32 s28, s23, -1
	v_cmp_lt_i32_e32 vcc, -1, v16
	s_and_saveexec_b64 s[4:5], vcc
	s_cbranch_execz .LBB0_17
; %bb.14:
	s_movk_i32 s2, 0x5f
	v_cmp_gt_i32_e64 s[0:1], s28, v16
	v_cmp_gt_u32_e64 s[2:3], s2, v15
	s_and_b64 s[2:3], s[2:3], s[0:1]
	s_and_saveexec_b64 s[0:1], s[2:3]
	s_cbranch_execz .LBB0_16
; %bb.15:
	ds_read_b32 v17, v14 offset:128
	ds_read_b32 v0, v13 offset:128
	s_waitcnt lgkmcnt(2)
	v_mul_f32_e32 v18, s21, v10
	s_waitcnt lgkmcnt(1)
	v_fma_f32 v18, v17, s20, -v18
	s_waitcnt lgkmcnt(0)
	v_mul_f32_e32 v19, s20, v0
	v_mul_f32_e32 v0, s21, v0
	v_fmac_f32_e32 v19, s21, v5
	v_fma_f32 v0, v5, s20, -v0
	v_mul_f32_e32 v5, s21, v17
	v_fmac_f32_e32 v5, s20, v10
	v_mov_b32_e32 v10, v5
	ds_write_b32 v14, v18 offset:128
	ds_write_b32 v13, v19 offset:128
.LBB0_16:
	s_or_b64 exec, exec, s[0:1]
.LBB0_17:
	s_or_b64 exec, exec, s[4:5]
	s_movk_i32 s0, 0xffdf
	v_add_u32_e32 v5, 32, v16
	v_cmp_lt_i32_e64 s[0:1], s0, v16
	s_and_saveexec_b64 s[8:9], s[0:1]
	s_cbranch_execz .LBB0_21
; %bb.18:
	v_cmp_gt_i32_e64 s[2:3], s28, v5
	v_cmp_gt_u32_e64 s[4:5], 63, v15
	s_and_b64 s[4:5], s[4:5], s[2:3]
	s_and_saveexec_b64 s[2:3], s[4:5]
	s_cbranch_execz .LBB0_20
; %bb.19:
	ds_read_b32 v17, v14 offset:2176
	ds_read_b32 v18, v13 offset:2176
	s_waitcnt lgkmcnt(2)
	v_mul_f32_e32 v19, s21, v11
	s_waitcnt lgkmcnt(1)
	v_fma_f32 v19, v17, s20, -v19
	v_mul_f32_e32 v17, s21, v17
	s_waitcnt lgkmcnt(0)
	v_mul_f32_e32 v20, s20, v18
	v_mul_f32_e32 v18, s21, v18
	v_fmac_f32_e32 v17, s20, v11
	v_fmac_f32_e32 v20, s21, v1
	v_fma_f32 v1, v1, s20, -v18
	v_mov_b32_e32 v11, v17
	ds_write_b32 v14, v19 offset:2176
	ds_write_b32 v13, v20 offset:2176
.LBB0_20:
	s_or_b64 exec, exec, s[2:3]
.LBB0_21:
	s_or_b64 exec, exec, s[8:9]
	s_movk_i32 s2, 0xffbf
	v_add_u32_e32 v17, 64, v16
	v_cmp_lt_i32_e64 s[2:3], s2, v16
	s_and_saveexec_b64 s[10:11], s[2:3]
	s_cbranch_execz .LBB0_25
; %bb.22:
	v_cmp_gt_i32_e64 s[4:5], s28, v17
	v_cmp_gt_u32_e64 s[8:9], 31, v15
	s_and_b64 s[8:9], s[8:9], s[4:5]
	s_and_saveexec_b64 s[4:5], s[8:9]
	s_cbranch_execz .LBB0_24
; %bb.23:
	ds_read_b32 v18, v14 offset:4224
	ds_read_b32 v19, v13 offset:4224
	v_mul_f32_e32 v20, s21, v4
	s_waitcnt lgkmcnt(1)
	v_fma_f32 v20, v18, s20, -v20
	v_mul_f32_e32 v18, s21, v18
	s_waitcnt lgkmcnt(0)
	v_mul_f32_e32 v21, s20, v19
	v_mul_f32_e32 v19, s21, v19
	v_fmac_f32_e32 v18, s20, v4
	v_fmac_f32_e32 v21, s21, v2
	v_fma_f32 v2, v2, s20, -v19
	v_mov_b32_e32 v4, v18
	ds_write_b32 v14, v20 offset:4224
	ds_write_b32 v13, v21 offset:4224
.LBB0_24:
	s_or_b64 exec, exec, s[4:5]
.LBB0_25:
	s_or_b64 exec, exec, s[10:11]
	s_add_i32 s4, s22, -1
	v_cmp_gt_i32_e64 s[4:5], s4, v12
	v_cmp_gt_u32_e64 s[8:9], 15, v8
	s_and_b64 s[4:5], s[8:9], s[4:5]
	s_and_b64 s[24:25], s[6:7], s[4:5]
	s_waitcnt lgkmcnt(0)
	s_barrier
	s_and_saveexec_b64 s[4:5], s[24:25]
	s_cbranch_execnz .LBB0_52
; %bb.26:
	s_or_b64 exec, exec, s[4:5]
	s_and_saveexec_b64 s[4:5], s[24:25]
	s_cbranch_execnz .LBB0_53
.LBB0_27:
	s_or_b64 exec, exec, s[4:5]
	s_and_saveexec_b64 s[4:5], s[24:25]
	s_cbranch_execz .LBB0_29
.LBB0_28:
	ds_read_b32 v18, v14 offset:4164
	ds_read_b32 v19, v13 offset:4164
	v_mul_f32_e32 v20, s21, v4
	s_waitcnt lgkmcnt(1)
	v_fma_f32 v20, v18, s20, -v20
	v_mul_f32_e32 v18, s21, v18
	s_waitcnt lgkmcnt(0)
	v_mul_f32_e32 v21, s20, v19
	v_mul_f32_e32 v19, s21, v19
	v_fmac_f32_e32 v18, s20, v4
	v_fmac_f32_e32 v21, s21, v2
	v_fma_f32 v2, v2, s20, -v19
	v_mov_b32_e32 v4, v18
	ds_write_b32 v14, v20 offset:4164
	ds_write_b32 v13, v21 offset:4164
.LBB0_29:
	s_or_b64 exec, exec, s[4:5]
	v_add_u32_e32 v18, -1, v15
	v_cmp_lt_i32_e64 s[6:7], 0, v16
	s_waitcnt lgkmcnt(0)
	s_barrier
	s_and_saveexec_b64 s[10:11], s[6:7]
	s_cbranch_execz .LBB0_33
; %bb.30:
	s_movk_i32 s8, 0x5f
	v_cmp_gt_i32_e64 s[4:5], s23, v16
	v_cmp_gt_u32_e64 s[8:9], s8, v18
	s_and_b64 s[8:9], s[4:5], s[8:9]
	s_and_saveexec_b64 s[4:5], s[8:9]
	s_cbranch_execz .LBB0_32
; %bb.31:
	ds_read_b32 v19, v14
	ds_read_b32 v20, v13
	v_mul_f32_e32 v21, s21, v10
	s_waitcnt lgkmcnt(1)
	v_fma_f32 v21, v19, s20, -v21
	v_mul_f32_e32 v19, s21, v19
	s_waitcnt lgkmcnt(0)
	v_mul_f32_e32 v22, s20, v20
	v_mul_f32_e32 v20, s21, v20
	v_fmac_f32_e32 v19, s20, v10
	v_fmac_f32_e32 v22, s21, v0
	v_fma_f32 v0, v0, s20, -v20
	v_mov_b32_e32 v10, v19
	ds_write_b32 v14, v21
	ds_write_b32 v13, v22
.LBB0_32:
	s_or_b64 exec, exec, s[4:5]
.LBB0_33:
	s_or_b64 exec, exec, s[10:11]
	s_movk_i32 s4, 0xffe0
	v_cmp_lt_i32_e64 s[8:9], s4, v16
	s_and_saveexec_b64 s[14:15], s[8:9]
	s_cbranch_execz .LBB0_37
; %bb.34:
	v_cmp_gt_i32_e64 s[4:5], s23, v5
	v_cmp_gt_u32_e64 s[10:11], 64, v15
	s_and_b64 s[10:11], s[4:5], s[10:11]
	s_and_saveexec_b64 s[4:5], s[10:11]
	s_cbranch_execz .LBB0_36
; %bb.35:
	ds_read_b32 v19, v14 offset:2048
	ds_read_b32 v20, v13 offset:2048
	v_mul_f32_e32 v21, s21, v11
	s_waitcnt lgkmcnt(1)
	v_fma_f32 v21, v19, s20, -v21
	v_mul_f32_e32 v19, s21, v19
	s_waitcnt lgkmcnt(0)
	v_mul_f32_e32 v22, s20, v20
	v_mul_f32_e32 v20, s21, v20
	v_fmac_f32_e32 v19, s20, v11
	v_fmac_f32_e32 v22, s21, v1
	v_fma_f32 v1, v1, s20, -v20
	v_mov_b32_e32 v11, v19
	ds_write_b32 v14, v21 offset:2048
	ds_write_b32 v13, v22 offset:2048
.LBB0_36:
	s_or_b64 exec, exec, s[4:5]
.LBB0_37:
	s_or_b64 exec, exec, s[14:15]
	s_movk_i32 s4, 0xffc0
	v_cmp_lt_i32_e64 s[10:11], s4, v16
	s_and_saveexec_b64 s[26:27], s[10:11]
	s_cbranch_execz .LBB0_41
; %bb.38:
	v_cmp_gt_i32_e64 s[4:5], s23, v17
	v_cmp_gt_u32_e64 s[14:15], 32, v15
	s_and_b64 s[14:15], s[4:5], s[14:15]
	s_and_saveexec_b64 s[4:5], s[14:15]
	s_cbranch_execz .LBB0_40
; %bb.39:
	ds_read_b32 v19, v14 offset:4096
	ds_read_b32 v20, v13 offset:4096
	v_mul_f32_e32 v21, s21, v4
	s_waitcnt lgkmcnt(1)
	v_fma_f32 v21, v19, s20, -v21
	v_mul_f32_e32 v19, s21, v19
	s_waitcnt lgkmcnt(0)
	v_mul_f32_e32 v22, s20, v20
	v_mul_f32_e32 v20, s21, v20
	v_fmac_f32_e32 v19, s20, v4
	v_fmac_f32_e32 v22, s21, v2
	v_fma_f32 v2, v2, s20, -v20
	v_mov_b32_e32 v4, v19
	ds_write_b32 v14, v21 offset:4096
	ds_write_b32 v13, v22 offset:4096
.LBB0_40:
	s_or_b64 exec, exec, s[4:5]
.LBB0_41:
	s_or_b64 exec, exec, s[26:27]
	v_add_u32_e32 v19, -1, v8
	v_cmp_lt_i32_e64 s[4:5], 0, v12
	v_cmp_gt_u32_e64 s[14:15], 15, v19
	s_and_b64 s[4:5], s[14:15], s[4:5]
	s_and_b64 s[4:5], s[4:5], s[12:13]
	s_waitcnt lgkmcnt(0)
	s_barrier
	s_and_saveexec_b64 s[12:13], s[4:5]
	s_cbranch_execnz .LBB0_54
; %bb.42:
	s_or_b64 exec, exec, s[12:13]
	s_and_saveexec_b64 s[12:13], s[4:5]
	s_cbranch_execnz .LBB0_55
.LBB0_43:
	s_or_b64 exec, exec, s[12:13]
	s_and_saveexec_b64 s[12:13], s[4:5]
	s_cbranch_execz .LBB0_45
.LBB0_44:
	ds_read_b32 v12, v14 offset:4156
	ds_read_b32 v19, v13 offset:4156
	v_mul_f32_e32 v20, s21, v4
	s_waitcnt lgkmcnt(1)
	v_fma_f32 v20, v12, s20, -v20
	v_mul_f32_e32 v12, s21, v12
	s_waitcnt lgkmcnt(0)
	v_mul_f32_e32 v21, s20, v19
	v_mul_f32_e32 v19, s21, v19
	v_fmac_f32_e32 v12, s20, v4
	v_fmac_f32_e32 v21, s21, v2
	v_fma_f32 v2, v2, s20, -v19
	v_mov_b32_e32 v4, v12
	ds_write_b32 v14, v20 offset:4156
	ds_write_b32 v13, v21 offset:4156
.LBB0_45:
	s_or_b64 exec, exec, s[12:13]
	s_waitcnt lgkmcnt(0)
	s_barrier
	s_and_saveexec_b64 s[12:13], s[4:5]
	s_cbranch_execnz .LBB0_56
; %bb.46:
	s_or_b64 exec, exec, s[12:13]
	s_and_saveexec_b64 s[12:13], s[4:5]
	s_cbranch_execnz .LBB0_57
.LBB0_47:
	s_or_b64 exec, exec, s[12:13]
	s_and_saveexec_b64 s[12:13], s[4:5]
	s_cbranch_execz .LBB0_49
.LBB0_48:
	ds_read_b32 v12, v14 offset:4156
	ds_read_b32 v19, v13 offset:4156
	v_mul_f32_e32 v20, s21, v4
	s_waitcnt lgkmcnt(1)
	v_fma_f32 v20, v12, s20, -v20
	v_mul_f32_e32 v12, s21, v12
	s_waitcnt lgkmcnt(0)
	v_mul_f32_e32 v21, s20, v19
	v_mul_f32_e32 v19, s21, v19
	v_fmac_f32_e32 v12, s20, v4
	v_fmac_f32_e32 v21, s21, v2
	v_fma_f32 v2, v2, s20, -v19
	v_mov_b32_e32 v4, v12
	ds_write_b32 v14, v20 offset:4156
	ds_write_b32 v13, v21 offset:4156
.LBB0_49:
	s_or_b64 exec, exec, s[12:13]
	s_waitcnt lgkmcnt(0)
	s_barrier
	s_and_saveexec_b64 s[12:13], s[6:7]
	s_cbranch_execnz .LBB0_58
; %bb.50:
	s_or_b64 exec, exec, s[12:13]
	s_and_saveexec_b64 s[12:13], s[8:9]
	s_cbranch_execnz .LBB0_61
.LBB0_51:
	s_or_b64 exec, exec, s[12:13]
	s_and_saveexec_b64 s[8:9], s[10:11]
	s_cbranch_execnz .LBB0_64
	s_branch .LBB0_67
.LBB0_52:
	ds_read_b32 v18, v14 offset:68
	ds_read_b32 v19, v13 offset:68
	v_mul_f32_e32 v20, s21, v10
	s_waitcnt lgkmcnt(1)
	v_fma_f32 v20, v18, s20, -v20
	v_mul_f32_e32 v18, s21, v18
	s_waitcnt lgkmcnt(0)
	v_mul_f32_e32 v21, s20, v19
	v_mul_f32_e32 v19, s21, v19
	v_fmac_f32_e32 v18, s20, v10
	v_fmac_f32_e32 v21, s21, v0
	v_fma_f32 v0, v0, s20, -v19
	v_mov_b32_e32 v10, v18
	ds_write_b32 v14, v20 offset:68
	ds_write_b32 v13, v21 offset:68
	s_or_b64 exec, exec, s[4:5]
	s_and_saveexec_b64 s[4:5], s[24:25]
	s_cbranch_execz .LBB0_27
.LBB0_53:
	ds_read_b32 v18, v14 offset:2116
	ds_read_b32 v19, v13 offset:2116
	v_mul_f32_e32 v20, s21, v11
	s_waitcnt lgkmcnt(1)
	v_fma_f32 v20, v18, s20, -v20
	v_mul_f32_e32 v18, s21, v18
	s_waitcnt lgkmcnt(0)
	v_mul_f32_e32 v21, s20, v19
	v_mul_f32_e32 v19, s21, v19
	v_fmac_f32_e32 v18, s20, v11
	v_fmac_f32_e32 v21, s21, v1
	v_fma_f32 v1, v1, s20, -v19
	v_mov_b32_e32 v11, v18
	ds_write_b32 v14, v20 offset:2116
	ds_write_b32 v13, v21 offset:2116
	s_or_b64 exec, exec, s[4:5]
	s_and_saveexec_b64 s[4:5], s[24:25]
	s_cbranch_execnz .LBB0_28
	s_branch .LBB0_29
.LBB0_54:
	ds_read_b32 v12, v14 offset:60
	ds_read_b32 v19, v13 offset:60
	v_mul_f32_e32 v20, s21, v10
	s_waitcnt lgkmcnt(1)
	v_fma_f32 v20, v12, s20, -v20
	v_mul_f32_e32 v12, s21, v12
	s_waitcnt lgkmcnt(0)
	v_mul_f32_e32 v21, s20, v19
	v_mul_f32_e32 v19, s21, v19
	v_fmac_f32_e32 v12, s20, v10
	v_fmac_f32_e32 v21, s21, v0
	v_fma_f32 v0, v0, s20, -v19
	v_mov_b32_e32 v10, v12
	ds_write_b32 v14, v20 offset:60
	ds_write_b32 v13, v21 offset:60
	s_or_b64 exec, exec, s[12:13]
	s_and_saveexec_b64 s[12:13], s[4:5]
	s_cbranch_execz .LBB0_43
.LBB0_55:
	ds_read_b32 v12, v14 offset:2108
	ds_read_b32 v19, v13 offset:2108
	v_mul_f32_e32 v20, s21, v11
	s_waitcnt lgkmcnt(1)
	v_fma_f32 v20, v12, s20, -v20
	v_mul_f32_e32 v12, s21, v12
	s_waitcnt lgkmcnt(0)
	v_mul_f32_e32 v21, s20, v19
	v_mul_f32_e32 v19, s21, v19
	v_fmac_f32_e32 v12, s20, v11
	v_fmac_f32_e32 v21, s21, v1
	v_fma_f32 v1, v1, s20, -v19
	v_mov_b32_e32 v11, v12
	ds_write_b32 v14, v20 offset:2108
	ds_write_b32 v13, v21 offset:2108
	s_or_b64 exec, exec, s[12:13]
	s_and_saveexec_b64 s[12:13], s[4:5]
	s_cbranch_execnz .LBB0_44
	s_branch .LBB0_45
.LBB0_56:
	ds_read_b32 v12, v14 offset:60
	ds_read_b32 v19, v13 offset:60
	v_mul_f32_e32 v20, s21, v10
	s_waitcnt lgkmcnt(1)
	v_fma_f32 v20, v12, s20, -v20
	v_mul_f32_e32 v12, s21, v12
	s_waitcnt lgkmcnt(0)
	v_mul_f32_e32 v21, s20, v19
	v_mul_f32_e32 v19, s21, v19
	v_fmac_f32_e32 v12, s20, v10
	v_fmac_f32_e32 v21, s21, v0
	v_fma_f32 v0, v0, s20, -v19
	v_mov_b32_e32 v10, v12
	ds_write_b32 v14, v20 offset:60
	ds_write_b32 v13, v21 offset:60
	s_or_b64 exec, exec, s[12:13]
	s_and_saveexec_b64 s[12:13], s[4:5]
	s_cbranch_execz .LBB0_47
.LBB0_57:
	ds_read_b32 v12, v14 offset:2108
	ds_read_b32 v19, v13 offset:2108
	v_mul_f32_e32 v20, s21, v11
	s_waitcnt lgkmcnt(1)
	v_fma_f32 v20, v12, s20, -v20
	v_mul_f32_e32 v12, s21, v12
	s_waitcnt lgkmcnt(0)
	v_mul_f32_e32 v21, s20, v19
	v_mul_f32_e32 v19, s21, v19
	v_fmac_f32_e32 v12, s20, v11
	v_fmac_f32_e32 v21, s21, v1
	v_fma_f32 v1, v1, s20, -v19
	v_mov_b32_e32 v11, v12
	ds_write_b32 v14, v20 offset:2108
	ds_write_b32 v13, v21 offset:2108
	s_or_b64 exec, exec, s[12:13]
	s_and_saveexec_b64 s[12:13], s[4:5]
	s_cbranch_execnz .LBB0_48
	s_branch .LBB0_49
.LBB0_58:
	s_movk_i32 s6, 0x5f
	v_cmp_gt_i32_e64 s[4:5], s23, v16
	v_cmp_gt_u32_e64 s[6:7], s6, v18
	s_and_b64 s[6:7], s[4:5], s[6:7]
	s_and_saveexec_b64 s[4:5], s[6:7]
	s_cbranch_execz .LBB0_60
; %bb.59:
	ds_read_b32 v12, v14
	ds_read_b32 v18, v13
	v_mul_f32_e32 v19, s21, v10
	s_waitcnt lgkmcnt(1)
	v_fma_f32 v19, v12, s20, -v19
	v_mul_f32_e32 v12, s21, v12
	s_waitcnt lgkmcnt(0)
	v_mul_f32_e32 v20, s20, v18
	v_mul_f32_e32 v18, s21, v18
	v_fmac_f32_e32 v12, s20, v10
	v_fmac_f32_e32 v20, s21, v0
	v_fma_f32 v0, v0, s20, -v18
	v_mov_b32_e32 v10, v12
	ds_write_b32 v14, v19
	ds_write_b32 v13, v20
.LBB0_60:
	s_or_b64 exec, exec, s[4:5]
	s_or_b64 exec, exec, s[12:13]
	s_and_saveexec_b64 s[12:13], s[8:9]
	s_cbranch_execz .LBB0_51
.LBB0_61:
	v_cmp_gt_i32_e64 s[4:5], s23, v5
	v_cmp_gt_u32_e64 s[6:7], 64, v15
	s_and_b64 s[6:7], s[4:5], s[6:7]
	s_and_saveexec_b64 s[4:5], s[6:7]
	s_cbranch_execz .LBB0_63
; %bb.62:
	ds_read_b32 v12, v14 offset:2048
	ds_read_b32 v18, v13 offset:2048
	v_mul_f32_e32 v19, s21, v11
	s_waitcnt lgkmcnt(1)
	v_fma_f32 v19, v12, s20, -v19
	v_mul_f32_e32 v12, s21, v12
	s_waitcnt lgkmcnt(0)
	v_mul_f32_e32 v20, s20, v18
	v_mul_f32_e32 v18, s21, v18
	v_fmac_f32_e32 v12, s20, v11
	v_fmac_f32_e32 v20, s21, v1
	v_fma_f32 v1, v1, s20, -v18
	v_mov_b32_e32 v11, v12
	ds_write_b32 v14, v19 offset:2048
	ds_write_b32 v13, v20 offset:2048
.LBB0_63:
	s_or_b64 exec, exec, s[4:5]
	s_or_b64 exec, exec, s[12:13]
	s_and_saveexec_b64 s[8:9], s[10:11]
	s_cbranch_execz .LBB0_67
.LBB0_64:
	v_cmp_gt_i32_e64 s[4:5], s23, v17
	v_cmp_gt_u32_e64 s[6:7], 32, v15
	s_and_b64 s[6:7], s[4:5], s[6:7]
	s_and_saveexec_b64 s[4:5], s[6:7]
	s_cbranch_execz .LBB0_66
; %bb.65:
	ds_read_b32 v12, v14 offset:4096
	ds_read_b32 v18, v13 offset:4096
	v_mul_f32_e32 v19, s21, v4
	s_waitcnt lgkmcnt(1)
	v_fma_f32 v19, v12, s20, -v19
	v_mul_f32_e32 v12, s21, v12
	s_waitcnt lgkmcnt(0)
	v_mul_f32_e32 v20, s20, v18
	v_mul_f32_e32 v18, s21, v18
	v_fmac_f32_e32 v12, s20, v4
	v_fmac_f32_e32 v20, s21, v2
	v_fma_f32 v2, v2, s20, -v18
	v_mov_b32_e32 v4, v12
	ds_write_b32 v14, v19 offset:4096
	ds_write_b32 v13, v20 offset:4096
.LBB0_66:
	s_or_b64 exec, exec, s[4:5]
.LBB0_67:
	s_or_b64 exec, exec, s[8:9]
	s_waitcnt lgkmcnt(0)
	s_barrier
	s_and_saveexec_b64 s[4:5], s[24:25]
	s_cbranch_execnz .LBB0_74
; %bb.68:
	s_or_b64 exec, exec, s[4:5]
	s_and_saveexec_b64 s[4:5], s[24:25]
	s_cbranch_execnz .LBB0_75
.LBB0_69:
	s_or_b64 exec, exec, s[4:5]
	s_and_saveexec_b64 s[4:5], s[24:25]
	s_cbranch_execz .LBB0_71
.LBB0_70:
	ds_read_b32 v12, v14 offset:4164
	ds_read_b32 v18, v13 offset:4164
	v_mul_f32_e32 v19, s21, v4
	s_waitcnt lgkmcnt(1)
	v_fma_f32 v19, v12, s20, -v19
	v_mul_f32_e32 v12, s21, v12
	s_waitcnt lgkmcnt(0)
	v_mul_f32_e32 v20, s20, v18
	v_mul_f32_e32 v18, s21, v18
	v_fmac_f32_e32 v12, s20, v4
	v_fmac_f32_e32 v20, s21, v2
	v_fma_f32 v2, v2, s20, -v18
	v_mov_b32_e32 v4, v12
	ds_write_b32 v14, v19 offset:4164
	ds_write_b32 v13, v20 offset:4164
.LBB0_71:
	s_or_b64 exec, exec, s[4:5]
	s_waitcnt lgkmcnt(0)
	s_barrier
	s_and_saveexec_b64 s[6:7], vcc
	s_cbranch_execnz .LBB0_76
; %bb.72:
	s_or_b64 exec, exec, s[6:7]
	s_and_saveexec_b64 s[4:5], s[0:1]
	s_cbranch_execnz .LBB0_79
.LBB0_73:
	s_or_b64 exec, exec, s[4:5]
	s_and_saveexec_b64 s[4:5], s[2:3]
	s_cbranch_execnz .LBB0_82
	s_branch .LBB0_85
.LBB0_74:
	ds_read_b32 v12, v14 offset:68
	ds_read_b32 v18, v13 offset:68
	v_mul_f32_e32 v19, s21, v10
	s_waitcnt lgkmcnt(1)
	v_fma_f32 v19, v12, s20, -v19
	v_mul_f32_e32 v12, s21, v12
	s_waitcnt lgkmcnt(0)
	v_mul_f32_e32 v20, s20, v18
	v_mul_f32_e32 v18, s21, v18
	v_fmac_f32_e32 v12, s20, v10
	v_fmac_f32_e32 v20, s21, v0
	v_fma_f32 v0, v0, s20, -v18
	v_mov_b32_e32 v10, v12
	ds_write_b32 v14, v19 offset:68
	ds_write_b32 v13, v20 offset:68
	s_or_b64 exec, exec, s[4:5]
	s_and_saveexec_b64 s[4:5], s[24:25]
	s_cbranch_execz .LBB0_69
.LBB0_75:
	ds_read_b32 v12, v14 offset:2116
	ds_read_b32 v18, v13 offset:2116
	v_mul_f32_e32 v19, s21, v11
	s_waitcnt lgkmcnt(1)
	v_fma_f32 v19, v12, s20, -v19
	v_mul_f32_e32 v12, s21, v12
	s_waitcnt lgkmcnt(0)
	v_mul_f32_e32 v20, s20, v18
	v_mul_f32_e32 v18, s21, v18
	v_fmac_f32_e32 v12, s20, v11
	v_fmac_f32_e32 v20, s21, v1
	v_fma_f32 v1, v1, s20, -v18
	v_mov_b32_e32 v11, v12
	ds_write_b32 v14, v19 offset:2116
	ds_write_b32 v13, v20 offset:2116
	s_or_b64 exec, exec, s[4:5]
	s_and_saveexec_b64 s[4:5], s[24:25]
	s_cbranch_execnz .LBB0_70
	s_branch .LBB0_71
.LBB0_76:
	s_movk_i32 s4, 0x5f
	v_cmp_gt_i32_e32 vcc, s28, v16
	v_cmp_gt_u32_e64 s[4:5], s4, v15
	s_and_b64 s[8:9], s[4:5], vcc
	s_and_saveexec_b64 s[4:5], s[8:9]
	s_cbranch_execz .LBB0_78
; %bb.77:
	ds_read_b32 v12, v14 offset:128
	ds_read_b32 v16, v13 offset:128
	v_mul_f32_e32 v18, s21, v10
	s_waitcnt lgkmcnt(1)
	v_fma_f32 v18, v12, s20, -v18
	v_mul_f32_e32 v12, s21, v12
	s_waitcnt lgkmcnt(0)
	v_mul_f32_e32 v19, s20, v16
	v_mul_f32_e32 v16, s21, v16
	v_fmac_f32_e32 v12, s20, v10
	v_fmac_f32_e32 v19, s21, v0
	v_fma_f32 v0, v0, s20, -v16
	v_mov_b32_e32 v10, v12
	ds_write_b32 v14, v18 offset:128
	ds_write_b32 v13, v19 offset:128
.LBB0_78:
	s_or_b64 exec, exec, s[4:5]
	s_or_b64 exec, exec, s[6:7]
	s_and_saveexec_b64 s[4:5], s[0:1]
	s_cbranch_execz .LBB0_73
.LBB0_79:
	v_cmp_gt_i32_e32 vcc, s28, v5
	v_cmp_gt_u32_e64 s[0:1], 63, v15
	s_and_b64 s[6:7], s[0:1], vcc
	s_and_saveexec_b64 s[0:1], s[6:7]
	s_cbranch_execz .LBB0_81
; %bb.80:
	ds_read_b32 v5, v14 offset:2176
	ds_read_b32 v12, v13 offset:2176
	v_mul_f32_e32 v16, s21, v11
	s_waitcnt lgkmcnt(1)
	v_fma_f32 v16, v5, s20, -v16
	v_mul_f32_e32 v5, s21, v5
	s_waitcnt lgkmcnt(0)
	v_mul_f32_e32 v18, s20, v12
	v_mul_f32_e32 v12, s21, v12
	v_fmac_f32_e32 v5, s20, v11
	v_fmac_f32_e32 v18, s21, v1
	v_fma_f32 v1, v1, s20, -v12
	v_mov_b32_e32 v11, v5
	ds_write_b32 v14, v16 offset:2176
	ds_write_b32 v13, v18 offset:2176
.LBB0_81:
	s_or_b64 exec, exec, s[0:1]
	s_or_b64 exec, exec, s[4:5]
	s_and_saveexec_b64 s[4:5], s[2:3]
	s_cbranch_execz .LBB0_85
.LBB0_82:
	v_cmp_gt_i32_e32 vcc, s28, v17
	v_cmp_gt_u32_e64 s[0:1], 31, v15
	s_and_b64 s[2:3], s[0:1], vcc
	s_and_saveexec_b64 s[0:1], s[2:3]
	s_cbranch_execz .LBB0_84
; %bb.83:
	ds_read_b32 v5, v14 offset:4224
	ds_read_b32 v12, v13 offset:4224
	v_mul_f32_e32 v15, s21, v4
	s_waitcnt lgkmcnt(1)
	v_fma_f32 v15, v5, s20, -v15
	v_mul_f32_e32 v5, s21, v5
	s_waitcnt lgkmcnt(0)
	v_mul_f32_e32 v16, s20, v12
	v_mul_f32_e32 v12, s21, v12
	v_fmac_f32_e32 v5, s20, v4
	v_fmac_f32_e32 v16, s21, v2
	v_fma_f32 v2, v2, s20, -v12
	v_mov_b32_e32 v4, v5
	ds_write_b32 v14, v15 offset:4224
	ds_write_b32 v13, v16 offset:4224
.LBB0_84:
	s_or_b64 exec, exec, s[0:1]
.LBB0_85:
	s_or_b64 exec, exec, s[4:5]
	v_add_u32_e32 v5, 64, v14
	v_cmp_gt_u32_e32 vcc, 10, v8
	v_cmp_gt_i32_e64 s[0:1], s22, v6
	s_waitcnt lgkmcnt(0)
	s_barrier
	ds_write2st64_b32 v5, v0, v1 offset1:8
	v_add_u32_e32 v0, 64, v13
	s_and_b64 s[0:1], vcc, s[0:1]
	ds_write2st64_b32 v0, v10, v11 offset1:8
	ds_write_b32 v14, v2 offset:4160
	ds_write_b32 v13, v4 offset:4160
	s_waitcnt lgkmcnt(0)
	s_barrier
	s_and_saveexec_b64 s[2:3], s[0:1]
	s_cbranch_execz .LBB0_98
; %bb.86:
	v_mad_u64_u32 v[0:1], s[0:1], v7, s22, v[6:7]
	s_movk_i32 s0, 0x58
	v_cmp_gt_u32_e32 vcc, s0, v3
	v_cmp_gt_i32_e64 s[0:1], s23, v7
	s_and_b64 s[2:3], vcc, s[0:1]
	s_and_saveexec_b64 s[0:1], s[2:3]
	s_cbranch_execz .LBB0_88
; %bb.87:
	v_ashrrev_i32_e32 v1, 31, v0
	v_lshlrev_b64 v[4:5], 2, v[0:1]
	v_mov_b32_e32 v1, s19
	v_add_co_u32_e32 v10, vcc, s18, v4
	v_addc_co_u32_e32 v11, vcc, v1, v5, vcc
	v_lshl_add_u32 v1, v3, 6, v9
	v_add_u32_e32 v1, 12, v1
	ds_read2st64_b32 v[12:13], v1 offset0:1 offset1:25
	v_mov_b32_e32 v2, s17
	v_add_co_u32_e32 v4, vcc, s16, v4
	v_addc_co_u32_e32 v5, vcc, v2, v5, vcc
	s_waitcnt lgkmcnt(0)
	global_store_dword v[4:5], v13, off
	global_store_dword v[10:11], v12, off
.LBB0_88:
	s_or_b64 exec, exec, s[0:1]
	s_movk_i32 s0, 0x48
	v_add_u32_e32 v1, 16, v7
	s_lshl_b32 s2, s22, 4
	v_cmp_gt_u32_e32 vcc, s0, v3
	v_cmp_gt_i32_e64 s[0:1], s23, v1
	v_add_u32_e32 v0, s2, v0
	s_and_b64 s[4:5], vcc, s[0:1]
	s_and_saveexec_b64 s[0:1], s[4:5]
	s_cbranch_execz .LBB0_90
; %bb.89:
	v_ashrrev_i32_e32 v1, 31, v0
	v_lshlrev_b64 v[4:5], 2, v[0:1]
	v_mov_b32_e32 v1, s19
	v_add_co_u32_e32 v10, vcc, s18, v4
	v_addc_co_u32_e32 v11, vcc, v1, v5, vcc
	v_lshl_add_u32 v1, v3, 6, v9
	v_add_u32_e32 v1, 12, v1
	ds_read2st64_b32 v[12:13], v1 offset0:5 offset1:29
	v_mov_b32_e32 v2, s17
	v_add_co_u32_e32 v4, vcc, s16, v4
	v_addc_co_u32_e32 v5, vcc, v2, v5, vcc
	s_waitcnt lgkmcnt(0)
	global_store_dword v[4:5], v13, off
	global_store_dword v[10:11], v12, off
.LBB0_90:
	s_or_b64 exec, exec, s[0:1]
	v_add_u32_e32 v1, 32, v7
	v_cmp_gt_u32_e32 vcc, 56, v3
	v_cmp_gt_i32_e64 s[0:1], s23, v1
	v_add_u32_e32 v0, s2, v0
	s_and_b64 s[4:5], vcc, s[0:1]
	s_and_saveexec_b64 s[0:1], s[4:5]
	s_cbranch_execz .LBB0_92
; %bb.91:
	v_ashrrev_i32_e32 v1, 31, v0
	v_lshlrev_b64 v[4:5], 2, v[0:1]
	v_mov_b32_e32 v1, s19
	v_add_co_u32_e32 v10, vcc, s18, v4
	v_addc_co_u32_e32 v11, vcc, v1, v5, vcc
	v_lshl_add_u32 v1, v3, 6, v9
	v_add_u32_e32 v1, 12, v1
	ds_read2st64_b32 v[12:13], v1 offset0:9 offset1:33
	v_mov_b32_e32 v2, s17
	v_add_co_u32_e32 v4, vcc, s16, v4
	v_addc_co_u32_e32 v5, vcc, v2, v5, vcc
	s_waitcnt lgkmcnt(0)
	global_store_dword v[4:5], v13, off
	global_store_dword v[10:11], v12, off
.LBB0_92:
	s_or_b64 exec, exec, s[0:1]
	v_add_u32_e32 v1, 48, v7
	;; [unrolled: 24-line block ×4, first 2 shown]
	v_cmp_gt_u32_e32 vcc, 8, v3
	v_cmp_gt_i32_e64 s[0:1], s23, v1
	s_and_b64 s[0:1], vcc, s[0:1]
	s_and_b64 exec, exec, s[0:1]
	s_cbranch_execz .LBB0_98
; %bb.97:
	v_add_u32_e32 v0, s2, v0
	v_ashrrev_i32_e32 v1, 31, v0
	v_lshlrev_b64 v[0:1], 2, v[0:1]
	v_mov_b32_e32 v2, s19
	v_add_co_u32_e32 v4, vcc, s18, v0
	v_addc_co_u32_e32 v5, vcc, v2, v1, vcc
	v_lshl_add_u32 v2, v3, 6, v9
	v_add_u32_e32 v2, 12, v2
	ds_read2st64_b32 v[2:3], v2 offset0:21 offset1:45
	v_mov_b32_e32 v6, s17
	v_add_co_u32_e32 v0, vcc, s16, v0
	v_addc_co_u32_e32 v1, vcc, v6, v1, vcc
	s_waitcnt lgkmcnt(0)
	global_store_dword v[0:1], v3, off
	global_store_dword v[4:5], v2, off
.LBB0_98:
	s_endpgm
	.section	.rodata,"a",@progbits
	.p2align	6, 0x0
	.amdhsa_kernel _Z6kernelIfLi1ELi16ELi96ELi3ELi4ELi16EEvT_S0_iiPKS0_S2_PS0_S3_
		.amdhsa_group_segment_fixed_size 12288
		.amdhsa_private_segment_fixed_size 0
		.amdhsa_kernarg_size 48
		.amdhsa_user_sgpr_count 6
		.amdhsa_user_sgpr_private_segment_buffer 1
		.amdhsa_user_sgpr_dispatch_ptr 0
		.amdhsa_user_sgpr_queue_ptr 0
		.amdhsa_user_sgpr_kernarg_segment_ptr 1
		.amdhsa_user_sgpr_dispatch_id 0
		.amdhsa_user_sgpr_flat_scratch_init 0
		.amdhsa_user_sgpr_kernarg_preload_length 0
		.amdhsa_user_sgpr_kernarg_preload_offset 0
		.amdhsa_user_sgpr_private_segment_size 0
		.amdhsa_uses_dynamic_stack 0
		.amdhsa_system_sgpr_private_segment_wavefront_offset 0
		.amdhsa_system_sgpr_workgroup_id_x 1
		.amdhsa_system_sgpr_workgroup_id_y 1
		.amdhsa_system_sgpr_workgroup_id_z 0
		.amdhsa_system_sgpr_workgroup_info 0
		.amdhsa_system_vgpr_workitem_id 1
		.amdhsa_next_free_vgpr 23
		.amdhsa_next_free_sgpr 29
		.amdhsa_accum_offset 24
		.amdhsa_reserve_vcc 1
		.amdhsa_reserve_flat_scratch 0
		.amdhsa_float_round_mode_32 0
		.amdhsa_float_round_mode_16_64 0
		.amdhsa_float_denorm_mode_32 3
		.amdhsa_float_denorm_mode_16_64 3
		.amdhsa_dx10_clamp 1
		.amdhsa_ieee_mode 1
		.amdhsa_fp16_overflow 0
		.amdhsa_tg_split 0
		.amdhsa_exception_fp_ieee_invalid_op 0
		.amdhsa_exception_fp_denorm_src 0
		.amdhsa_exception_fp_ieee_div_zero 0
		.amdhsa_exception_fp_ieee_overflow 0
		.amdhsa_exception_fp_ieee_underflow 0
		.amdhsa_exception_fp_ieee_inexact 0
		.amdhsa_exception_int_div_zero 0
	.end_amdhsa_kernel
	.section	.text._Z6kernelIfLi1ELi16ELi96ELi3ELi4ELi16EEvT_S0_iiPKS0_S2_PS0_S3_,"axG",@progbits,_Z6kernelIfLi1ELi16ELi96ELi3ELi4ELi16EEvT_S0_iiPKS0_S2_PS0_S3_,comdat
.Lfunc_end0:
	.size	_Z6kernelIfLi1ELi16ELi96ELi3ELi4ELi16EEvT_S0_iiPKS0_S2_PS0_S3_, .Lfunc_end0-_Z6kernelIfLi1ELi16ELi96ELi3ELi4ELi16EEvT_S0_iiPKS0_S2_PS0_S3_
                                        ; -- End function
	.section	.AMDGPU.csdata,"",@progbits
; Kernel info:
; codeLenInByte = 4732
; NumSgprs: 33
; NumVgprs: 23
; NumAgprs: 0
; TotalNumVgprs: 23
; ScratchSize: 0
; MemoryBound: 0
; FloatMode: 240
; IeeeMode: 1
; LDSByteSize: 12288 bytes/workgroup (compile time only)
; SGPRBlocks: 4
; VGPRBlocks: 2
; NumSGPRsForWavesPerEU: 33
; NumVGPRsForWavesPerEU: 23
; AccumOffset: 24
; Occupancy: 8
; WaveLimiterHint : 0
; COMPUTE_PGM_RSRC2:SCRATCH_EN: 0
; COMPUTE_PGM_RSRC2:USER_SGPR: 6
; COMPUTE_PGM_RSRC2:TRAP_HANDLER: 0
; COMPUTE_PGM_RSRC2:TGID_X_EN: 1
; COMPUTE_PGM_RSRC2:TGID_Y_EN: 1
; COMPUTE_PGM_RSRC2:TGID_Z_EN: 0
; COMPUTE_PGM_RSRC2:TIDIG_COMP_CNT: 1
; COMPUTE_PGM_RSRC3_GFX90A:ACCUM_OFFSET: 5
; COMPUTE_PGM_RSRC3_GFX90A:TG_SPLIT: 0
	.section	.text._Z6kernelIdLi1ELi16ELi32ELi3ELi4ELi16EEvT_S0_iiPKS0_S2_PS0_S3_,"axG",@progbits,_Z6kernelIdLi1ELi16ELi32ELi3ELi4ELi16EEvT_S0_iiPKS0_S2_PS0_S3_,comdat
	.protected	_Z6kernelIdLi1ELi16ELi32ELi3ELi4ELi16EEvT_S0_iiPKS0_S2_PS0_S3_ ; -- Begin function _Z6kernelIdLi1ELi16ELi32ELi3ELi4ELi16EEvT_S0_iiPKS0_S2_PS0_S3_
	.globl	_Z6kernelIdLi1ELi16ELi32ELi3ELi4ELi16EEvT_S0_iiPKS0_S2_PS0_S3_
	.p2align	8
	.type	_Z6kernelIdLi1ELi16ELi32ELi3ELi4ELi16EEvT_S0_iiPKS0_S2_PS0_S3_,@function
_Z6kernelIdLi1ELi16ELi32ELi3ELi4ELi16EEvT_S0_iiPKS0_S2_PS0_S3_: ; @_Z6kernelIdLi1ELi16ELi32ELi3ELi4ELi16EEvT_S0_iiPKS0_S2_PS0_S3_
; %bb.0:
	s_load_dwordx2 s[20:21], s[4:5], 0x10
	s_load_dwordx4 s[12:15], s[4:5], 0x28
	v_and_b32_e32 v6, 0x3ff, v0
	v_mad_u64_u32 v[4:5], s[0:1], s6, 10, v[6:7]
	v_add_u32_e32 v8, -3, v4
	s_mul_i32 s22, s7, 24
	v_bfe_u32 v5, v0, 10, 10
	v_cmp_lt_i32_e32 vcc, -1, v8
	s_waitcnt lgkmcnt(0)
	v_cmp_gt_i32_e64 s[2:3], s20, v8
	v_add_u32_e32 v7, s22, v5
	s_and_b64 s[0:1], vcc, s[2:3]
	s_and_saveexec_b64 s[16:17], s[0:1]
	s_cbranch_execz .LBB1_5
; %bb.1:
	s_load_dwordx4 s[8:11], s[4:5], 0x18
	v_add_u32_e32 v2, -4, v7
	v_mad_u64_u32 v[0:1], s[0:1], v2, s20, v[8:9]
	v_cmp_lt_i32_e64 s[0:1], -1, v2
	v_cmp_gt_i32_e64 s[6:7], s21, v2
	s_and_b64 s[0:1], s[0:1], s[6:7]
	s_and_saveexec_b64 s[6:7], s[0:1]
	s_cbranch_execz .LBB1_3
; %bb.2:
	v_ashrrev_i32_e32 v1, 31, v0
	v_lshlrev_b64 v[2:3], 3, v[0:1]
	s_waitcnt lgkmcnt(0)
	v_mov_b32_e32 v1, s11
	v_add_co_u32_e64 v10, s[0:1], s10, v2
	v_addc_co_u32_e64 v11, s[0:1], v1, v3, s[0:1]
	v_mov_b32_e32 v1, s9
	v_add_co_u32_e64 v2, s[0:1], s8, v2
	v_addc_co_u32_e64 v3, s[0:1], v1, v3, s[0:1]
	global_load_dwordx2 v[12:13], v[2:3], off
	global_load_dwordx2 v[14:15], v[10:11], off
	v_lshlrev_b32_e32 v1, 3, v6
	v_lshl_add_u32 v1, v5, 7, v1
	s_waitcnt vmcnt(0)
	ds_write2st64_b64 v1, v[14:15], v[12:13] offset1:8
.LBB1_3:
	s_or_b64 exec, exec, s[6:7]
	v_add_u32_e32 v1, 12, v7
	v_cmp_lt_i32_e64 s[0:1], -1, v1
	v_cmp_gt_i32_e64 s[6:7], s21, v1
	s_and_b64 s[0:1], s[0:1], s[6:7]
	s_and_b64 exec, exec, s[0:1]
	s_cbranch_execz .LBB1_5
; %bb.4:
	v_lshl_add_u32 v0, s20, 4, v0
	v_ashrrev_i32_e32 v1, 31, v0
	v_lshlrev_b64 v[0:1], 3, v[0:1]
	s_waitcnt lgkmcnt(0)
	v_mov_b32_e32 v3, s11
	v_add_co_u32_e64 v2, s[0:1], s10, v0
	v_addc_co_u32_e64 v3, s[0:1], v3, v1, s[0:1]
	v_mov_b32_e32 v9, s9
	v_add_co_u32_e64 v0, s[0:1], s8, v0
	v_addc_co_u32_e64 v1, s[0:1], v9, v1, s[0:1]
	global_load_dwordx2 v[10:11], v[0:1], off
	global_load_dwordx2 v[12:13], v[2:3], off
	v_lshlrev_b32_e32 v0, 3, v6
	v_lshl_add_u32 v0, v5, 7, v0
	s_waitcnt vmcnt(0)
	ds_write2st64_b64 v0, v[12:13], v[10:11] offset0:4 offset1:12
.LBB1_5:
	s_or_b64 exec, exec, s[16:17]
	v_lshlrev_b32_e32 v0, 1, v5
	v_and_b32_e32 v12, 1, v6
	v_or_b32_e32 v11, 1, v0
	v_sub_u32_e32 v0, v0, v12
	v_lshlrev_b32_e32 v9, 3, v6
	v_lshl_add_u32 v10, v0, 7, v9
	v_add_u32_e32 v0, 0x80, v10
	s_load_dwordx4 s[16:19], s[4:5], 0x0
	s_waitcnt lgkmcnt(0)
	s_barrier
	ds_read2st64_b64 v[0:3], v0 offset1:8
	v_sub_u32_e32 v12, v11, v12
	v_add3_u32 v13, s22, -4, v12
	v_add_u32_e32 v11, 0x1000, v10
	v_cmp_lt_i32_e64 s[0:1], -1, v13
	s_and_saveexec_b64 s[8:9], s[0:1]
	s_cbranch_execz .LBB1_9
; %bb.6:
	s_add_i32 s4, s21, -1
	v_cmp_gt_i32_e64 s[4:5], s4, v13
	v_cmp_gt_u32_e64 s[6:7], 31, v12
	s_and_b64 s[6:7], s[6:7], s[4:5]
	s_and_saveexec_b64 s[4:5], s[6:7]
	s_cbranch_execz .LBB1_8
; %bb.7:
	ds_read_b64 v[14:15], v11 offset:256
	ds_read_b64 v[16:17], v10 offset:256
	s_waitcnt lgkmcnt(2)
	v_mul_f64 v[18:19], v[0:1], s[18:19]
	s_waitcnt lgkmcnt(1)
	v_fma_f64 v[18:19], v[14:15], s[16:17], -v[18:19]
	v_mul_f64 v[14:15], v[14:15], s[18:19]
	s_waitcnt lgkmcnt(0)
	v_mul_f64 v[20:21], v[16:17], s[16:17]
	v_mul_f64 v[16:17], v[16:17], s[18:19]
	v_fmac_f64_e32 v[14:15], s[16:17], v[0:1]
	v_fmac_f64_e32 v[20:21], s[18:19], v[2:3]
	v_fma_f64 v[2:3], v[2:3], s[16:17], -v[16:17]
	v_pk_mov_b32 v[0:1], v[14:15], v[14:15] op_sel:[0,1]
	ds_write_b64 v11, v[18:19] offset:256
	ds_write_b64 v10, v[20:21] offset:256
.LBB1_8:
	s_or_b64 exec, exec, s[4:5]
.LBB1_9:
	s_or_b64 exec, exec, s[8:9]
	s_waitcnt lgkmcnt(0)
	s_barrier
	s_and_saveexec_b64 s[8:9], vcc
	s_cbranch_execz .LBB1_13
; %bb.10:
	s_add_i32 s4, s20, -1
	v_cmp_gt_i32_e64 s[4:5], s4, v8
	v_cmp_gt_u32_e64 s[6:7], 15, v6
	s_and_b64 s[6:7], s[6:7], s[4:5]
	s_and_saveexec_b64 s[4:5], s[6:7]
	s_cbranch_execz .LBB1_12
; %bb.11:
	ds_read_b64 v[14:15], v11 offset:136
	ds_read_b64 v[16:17], v10 offset:136
	v_mul_f64 v[18:19], v[0:1], s[18:19]
	s_waitcnt lgkmcnt(1)
	v_fma_f64 v[18:19], v[14:15], s[16:17], -v[18:19]
	v_mul_f64 v[14:15], v[14:15], s[18:19]
	s_waitcnt lgkmcnt(0)
	v_mul_f64 v[20:21], v[16:17], s[16:17]
	v_mul_f64 v[16:17], v[16:17], s[18:19]
	v_fmac_f64_e32 v[14:15], s[16:17], v[0:1]
	v_fmac_f64_e32 v[20:21], s[18:19], v[2:3]
	v_fma_f64 v[2:3], v[2:3], s[16:17], -v[16:17]
	v_pk_mov_b32 v[0:1], v[14:15], v[14:15] op_sel:[0,1]
	ds_write_b64 v11, v[18:19] offset:136
	ds_write_b64 v10, v[20:21] offset:136
.LBB1_12:
	s_or_b64 exec, exec, s[4:5]
.LBB1_13:
	s_or_b64 exec, exec, s[8:9]
	v_add_u32_e32 v14, -1, v12
	v_cmp_lt_i32_e64 s[4:5], 0, v13
	s_waitcnt lgkmcnt(0)
	s_barrier
	s_and_saveexec_b64 s[10:11], s[4:5]
	s_cbranch_execz .LBB1_17
; %bb.14:
	v_cmp_gt_i32_e64 s[6:7], s21, v13
	v_cmp_gt_u32_e64 s[8:9], 31, v14
	s_and_b64 s[8:9], s[8:9], s[6:7]
	s_and_saveexec_b64 s[6:7], s[8:9]
	s_cbranch_execz .LBB1_16
; %bb.15:
	ds_read_b64 v[16:17], v11
	ds_read_b64 v[18:19], v10
	v_mul_f64 v[20:21], v[0:1], s[18:19]
	s_waitcnt lgkmcnt(1)
	v_fma_f64 v[20:21], v[16:17], s[16:17], -v[20:21]
	v_mul_f64 v[16:17], v[16:17], s[18:19]
	s_waitcnt lgkmcnt(0)
	v_mul_f64 v[22:23], v[18:19], s[16:17]
	v_mul_f64 v[18:19], v[18:19], s[18:19]
	v_fmac_f64_e32 v[16:17], s[16:17], v[0:1]
	v_fmac_f64_e32 v[22:23], s[18:19], v[2:3]
	v_fma_f64 v[2:3], v[2:3], s[16:17], -v[18:19]
	v_pk_mov_b32 v[0:1], v[16:17], v[16:17] op_sel:[0,1]
	ds_write_b64 v11, v[20:21]
	ds_write_b64 v10, v[22:23]
.LBB1_16:
	s_or_b64 exec, exec, s[6:7]
.LBB1_17:
	s_or_b64 exec, exec, s[10:11]
	v_add_u32_e32 v15, -1, v6
	v_cmp_lt_i32_e64 s[6:7], 0, v8
	v_cmp_gt_u32_e64 s[8:9], 15, v15
	s_and_b64 s[6:7], s[8:9], s[6:7]
	s_and_b64 s[2:3], s[6:7], s[2:3]
	s_waitcnt lgkmcnt(0)
	s_barrier
	s_and_saveexec_b64 s[6:7], s[2:3]
	s_cbranch_execz .LBB1_19
; %bb.18:
	ds_read_b64 v[16:17], v11 offset:120
	ds_read_b64 v[18:19], v10 offset:120
	v_mul_f64 v[20:21], v[0:1], s[18:19]
	s_waitcnt lgkmcnt(1)
	v_fma_f64 v[20:21], v[16:17], s[16:17], -v[20:21]
	v_mul_f64 v[16:17], v[16:17], s[18:19]
	s_waitcnt lgkmcnt(0)
	v_mul_f64 v[22:23], v[18:19], s[16:17]
	v_mul_f64 v[18:19], v[18:19], s[18:19]
	v_fmac_f64_e32 v[16:17], s[16:17], v[0:1]
	v_fmac_f64_e32 v[22:23], s[18:19], v[2:3]
	v_fma_f64 v[2:3], v[2:3], s[16:17], -v[18:19]
	v_pk_mov_b32 v[0:1], v[16:17], v[16:17] op_sel:[0,1]
	ds_write_b64 v11, v[20:21] offset:120
	ds_write_b64 v10, v[22:23] offset:120
.LBB1_19:
	s_or_b64 exec, exec, s[6:7]
	s_waitcnt lgkmcnt(0)
	s_barrier
	s_and_saveexec_b64 s[6:7], s[2:3]
	s_cbranch_execz .LBB1_21
; %bb.20:
	ds_read_b64 v[16:17], v11 offset:120
	ds_read_b64 v[18:19], v10 offset:120
	v_mul_f64 v[20:21], v[0:1], s[18:19]
	s_waitcnt lgkmcnt(1)
	v_fma_f64 v[20:21], v[16:17], s[16:17], -v[20:21]
	v_mul_f64 v[16:17], v[16:17], s[18:19]
	s_waitcnt lgkmcnt(0)
	v_mul_f64 v[22:23], v[18:19], s[16:17]
	v_mul_f64 v[18:19], v[18:19], s[18:19]
	v_fmac_f64_e32 v[16:17], s[16:17], v[0:1]
	v_fmac_f64_e32 v[22:23], s[18:19], v[2:3]
	v_fma_f64 v[2:3], v[2:3], s[16:17], -v[18:19]
	v_pk_mov_b32 v[0:1], v[16:17], v[16:17] op_sel:[0,1]
	ds_write_b64 v11, v[20:21] offset:120
	ds_write_b64 v10, v[22:23] offset:120
.LBB1_21:
	s_or_b64 exec, exec, s[6:7]
	s_waitcnt lgkmcnt(0)
	s_barrier
	s_and_saveexec_b64 s[6:7], s[4:5]
	s_cbranch_execz .LBB1_25
; %bb.22:
	v_cmp_gt_i32_e64 s[2:3], s21, v13
	v_cmp_gt_u32_e64 s[4:5], 31, v14
	s_and_b64 s[4:5], s[4:5], s[2:3]
	s_and_saveexec_b64 s[2:3], s[4:5]
	s_cbranch_execz .LBB1_24
; %bb.23:
	ds_read_b64 v[14:15], v11
	ds_read_b64 v[16:17], v10
	v_mul_f64 v[18:19], v[0:1], s[18:19]
	s_waitcnt lgkmcnt(1)
	v_fma_f64 v[18:19], v[14:15], s[16:17], -v[18:19]
	v_mul_f64 v[14:15], v[14:15], s[18:19]
	s_waitcnt lgkmcnt(0)
	v_mul_f64 v[20:21], v[16:17], s[16:17]
	v_mul_f64 v[16:17], v[16:17], s[18:19]
	v_fmac_f64_e32 v[14:15], s[16:17], v[0:1]
	v_fmac_f64_e32 v[20:21], s[18:19], v[2:3]
	v_fma_f64 v[2:3], v[2:3], s[16:17], -v[16:17]
	v_pk_mov_b32 v[0:1], v[14:15], v[14:15] op_sel:[0,1]
	ds_write_b64 v11, v[18:19]
	ds_write_b64 v10, v[20:21]
.LBB1_24:
	s_or_b64 exec, exec, s[2:3]
.LBB1_25:
	s_or_b64 exec, exec, s[6:7]
	s_waitcnt lgkmcnt(0)
	s_barrier
	s_and_saveexec_b64 s[4:5], vcc
	s_cbranch_execz .LBB1_29
; %bb.26:
	s_add_i32 s2, s20, -1
	v_cmp_gt_i32_e32 vcc, s2, v8
	v_cmp_gt_u32_e64 s[2:3], 15, v6
	s_and_b64 s[6:7], s[2:3], vcc
	s_and_saveexec_b64 s[2:3], s[6:7]
	s_cbranch_execz .LBB1_28
; %bb.27:
	ds_read_b64 v[14:15], v11 offset:136
	ds_read_b64 v[16:17], v10 offset:136
	v_mul_f64 v[18:19], v[0:1], s[18:19]
	s_waitcnt lgkmcnt(1)
	v_fma_f64 v[18:19], v[14:15], s[16:17], -v[18:19]
	v_mul_f64 v[14:15], v[14:15], s[18:19]
	s_waitcnt lgkmcnt(0)
	v_mul_f64 v[20:21], v[16:17], s[16:17]
	v_mul_f64 v[16:17], v[16:17], s[18:19]
	v_fmac_f64_e32 v[14:15], s[16:17], v[0:1]
	v_fmac_f64_e32 v[20:21], s[18:19], v[2:3]
	v_fma_f64 v[2:3], v[2:3], s[16:17], -v[16:17]
	v_pk_mov_b32 v[0:1], v[14:15], v[14:15] op_sel:[0,1]
	ds_write_b64 v11, v[18:19] offset:136
	ds_write_b64 v10, v[20:21] offset:136
.LBB1_28:
	s_or_b64 exec, exec, s[2:3]
.LBB1_29:
	s_or_b64 exec, exec, s[4:5]
	s_waitcnt lgkmcnt(0)
	s_barrier
	s_and_saveexec_b64 s[2:3], s[0:1]
	s_cbranch_execz .LBB1_33
; %bb.30:
	s_add_i32 s0, s21, -1
	v_cmp_gt_i32_e32 vcc, s0, v13
	v_cmp_gt_u32_e64 s[0:1], 31, v12
	s_and_b64 s[4:5], s[0:1], vcc
	s_and_saveexec_b64 s[0:1], s[4:5]
	s_cbranch_execz .LBB1_32
; %bb.31:
	ds_read_b64 v[12:13], v11 offset:256
	ds_read_b64 v[14:15], v10 offset:256
	v_mul_f64 v[16:17], v[0:1], s[18:19]
	s_waitcnt lgkmcnt(1)
	v_fma_f64 v[16:17], v[12:13], s[16:17], -v[16:17]
	v_mul_f64 v[12:13], v[12:13], s[18:19]
	s_waitcnt lgkmcnt(0)
	v_mul_f64 v[18:19], v[14:15], s[16:17]
	v_mul_f64 v[14:15], v[14:15], s[18:19]
	v_fmac_f64_e32 v[12:13], s[16:17], v[0:1]
	v_fmac_f64_e32 v[18:19], s[18:19], v[2:3]
	v_fma_f64 v[2:3], v[2:3], s[16:17], -v[14:15]
	v_pk_mov_b32 v[0:1], v[12:13], v[12:13] op_sel:[0,1]
	ds_write_b64 v11, v[16:17] offset:256
	ds_write_b64 v10, v[18:19] offset:256
.LBB1_32:
	s_or_b64 exec, exec, s[0:1]
.LBB1_33:
	s_or_b64 exec, exec, s[2:3]
	v_cmp_gt_u32_e32 vcc, 10, v6
	v_cmp_gt_i32_e64 s[0:1], s20, v4
	s_and_b64 s[0:1], vcc, s[0:1]
	s_waitcnt lgkmcnt(0)
	s_barrier
	ds_write_b64 v11, v[2:3] offset:128
	ds_write_b64 v10, v[0:1] offset:128
	s_waitcnt lgkmcnt(0)
	s_barrier
	s_and_saveexec_b64 s[2:3], s[0:1]
	s_cbranch_execz .LBB1_38
; %bb.34:
	v_mad_u64_u32 v[0:1], s[0:1], v7, s20, v[4:5]
	v_cmp_gt_u32_e32 vcc, 24, v5
	v_cmp_gt_i32_e64 s[0:1], s21, v7
	s_and_b64 s[2:3], vcc, s[0:1]
	s_and_saveexec_b64 s[0:1], s[2:3]
	s_cbranch_execz .LBB1_36
; %bb.35:
	v_ashrrev_i32_e32 v1, 31, v0
	v_lshlrev_b64 v[2:3], 3, v[0:1]
	v_mov_b32_e32 v1, s15
	v_add_co_u32_e32 v14, vcc, s14, v2
	v_addc_co_u32_e32 v15, vcc, v1, v3, vcc
	v_lshl_add_u32 v1, v5, 7, v9
	v_add_u32_e32 v1, 24, v1
	ds_read2st64_b64 v[10:13], v1 offset0:1 offset1:9
	v_mov_b32_e32 v4, s13
	v_add_co_u32_e32 v2, vcc, s12, v2
	v_addc_co_u32_e32 v3, vcc, v4, v3, vcc
	s_waitcnt lgkmcnt(0)
	global_store_dwordx2 v[2:3], v[12:13], off
	global_store_dwordx2 v[14:15], v[10:11], off
.LBB1_36:
	s_or_b64 exec, exec, s[0:1]
	v_add_u32_e32 v1, 16, v7
	v_cmp_gt_u32_e32 vcc, 8, v5
	v_cmp_gt_i32_e64 s[0:1], s21, v1
	s_and_b64 s[0:1], vcc, s[0:1]
	s_and_b64 exec, exec, s[0:1]
	s_cbranch_execz .LBB1_38
; %bb.37:
	v_lshl_add_u32 v0, s20, 4, v0
	v_ashrrev_i32_e32 v1, 31, v0
	v_lshlrev_b64 v[6:7], 3, v[0:1]
	v_mov_b32_e32 v0, s15
	v_add_co_u32_e32 v10, vcc, s14, v6
	v_addc_co_u32_e32 v11, vcc, v0, v7, vcc
	v_lshl_add_u32 v0, v5, 7, v9
	v_add_u32_e32 v0, 24, v0
	ds_read2st64_b64 v[0:3], v0 offset0:5 offset1:13
	v_mov_b32_e32 v5, s13
	v_add_co_u32_e32 v4, vcc, s12, v6
	v_addc_co_u32_e32 v5, vcc, v5, v7, vcc
	s_waitcnt lgkmcnt(0)
	global_store_dwordx2 v[4:5], v[2:3], off
	global_store_dwordx2 v[10:11], v[0:1], off
.LBB1_38:
	s_endpgm
	.section	.rodata,"a",@progbits
	.p2align	6, 0x0
	.amdhsa_kernel _Z6kernelIdLi1ELi16ELi32ELi3ELi4ELi16EEvT_S0_iiPKS0_S2_PS0_S3_
		.amdhsa_group_segment_fixed_size 8192
		.amdhsa_private_segment_fixed_size 0
		.amdhsa_kernarg_size 56
		.amdhsa_user_sgpr_count 6
		.amdhsa_user_sgpr_private_segment_buffer 1
		.amdhsa_user_sgpr_dispatch_ptr 0
		.amdhsa_user_sgpr_queue_ptr 0
		.amdhsa_user_sgpr_kernarg_segment_ptr 1
		.amdhsa_user_sgpr_dispatch_id 0
		.amdhsa_user_sgpr_flat_scratch_init 0
		.amdhsa_user_sgpr_kernarg_preload_length 0
		.amdhsa_user_sgpr_kernarg_preload_offset 0
		.amdhsa_user_sgpr_private_segment_size 0
		.amdhsa_uses_dynamic_stack 0
		.amdhsa_system_sgpr_private_segment_wavefront_offset 0
		.amdhsa_system_sgpr_workgroup_id_x 1
		.amdhsa_system_sgpr_workgroup_id_y 1
		.amdhsa_system_sgpr_workgroup_id_z 0
		.amdhsa_system_sgpr_workgroup_info 0
		.amdhsa_system_vgpr_workitem_id 1
		.amdhsa_next_free_vgpr 24
		.amdhsa_next_free_sgpr 23
		.amdhsa_accum_offset 24
		.amdhsa_reserve_vcc 1
		.amdhsa_reserve_flat_scratch 0
		.amdhsa_float_round_mode_32 0
		.amdhsa_float_round_mode_16_64 0
		.amdhsa_float_denorm_mode_32 3
		.amdhsa_float_denorm_mode_16_64 3
		.amdhsa_dx10_clamp 1
		.amdhsa_ieee_mode 1
		.amdhsa_fp16_overflow 0
		.amdhsa_tg_split 0
		.amdhsa_exception_fp_ieee_invalid_op 0
		.amdhsa_exception_fp_denorm_src 0
		.amdhsa_exception_fp_ieee_div_zero 0
		.amdhsa_exception_fp_ieee_overflow 0
		.amdhsa_exception_fp_ieee_underflow 0
		.amdhsa_exception_fp_ieee_inexact 0
		.amdhsa_exception_int_div_zero 0
	.end_amdhsa_kernel
	.section	.text._Z6kernelIdLi1ELi16ELi32ELi3ELi4ELi16EEvT_S0_iiPKS0_S2_PS0_S3_,"axG",@progbits,_Z6kernelIdLi1ELi16ELi32ELi3ELi4ELi16EEvT_S0_iiPKS0_S2_PS0_S3_,comdat
.Lfunc_end1:
	.size	_Z6kernelIdLi1ELi16ELi32ELi3ELi4ELi16EEvT_S0_iiPKS0_S2_PS0_S3_, .Lfunc_end1-_Z6kernelIdLi1ELi16ELi32ELi3ELi4ELi16EEvT_S0_iiPKS0_S2_PS0_S3_
                                        ; -- End function
	.section	.AMDGPU.csdata,"",@progbits
; Kernel info:
; codeLenInByte = 1968
; NumSgprs: 27
; NumVgprs: 24
; NumAgprs: 0
; TotalNumVgprs: 24
; ScratchSize: 0
; MemoryBound: 0
; FloatMode: 240
; IeeeMode: 1
; LDSByteSize: 8192 bytes/workgroup (compile time only)
; SGPRBlocks: 3
; VGPRBlocks: 2
; NumSGPRsForWavesPerEU: 27
; NumVGPRsForWavesPerEU: 24
; AccumOffset: 24
; Occupancy: 8
; WaveLimiterHint : 0
; COMPUTE_PGM_RSRC2:SCRATCH_EN: 0
; COMPUTE_PGM_RSRC2:USER_SGPR: 6
; COMPUTE_PGM_RSRC2:TRAP_HANDLER: 0
; COMPUTE_PGM_RSRC2:TGID_X_EN: 1
; COMPUTE_PGM_RSRC2:TGID_Y_EN: 1
; COMPUTE_PGM_RSRC2:TGID_Z_EN: 0
; COMPUTE_PGM_RSRC2:TIDIG_COMP_CNT: 1
; COMPUTE_PGM_RSRC3_GFX90A:ACCUM_OFFSET: 5
; COMPUTE_PGM_RSRC3_GFX90A:TG_SPLIT: 0
	.text
	.p2alignl 6, 3212836864
	.fill 256, 4, 3212836864
	.type	__hip_cuid_a11c5a34a7d33686,@object ; @__hip_cuid_a11c5a34a7d33686
	.section	.bss,"aw",@nobits
	.globl	__hip_cuid_a11c5a34a7d33686
__hip_cuid_a11c5a34a7d33686:
	.byte	0                               ; 0x0
	.size	__hip_cuid_a11c5a34a7d33686, 1

	.ident	"AMD clang version 19.0.0git (https://github.com/RadeonOpenCompute/llvm-project roc-6.4.0 25133 c7fe45cf4b819c5991fe208aaa96edf142730f1d)"
	.section	".note.GNU-stack","",@progbits
	.addrsig
	.addrsig_sym __hip_cuid_a11c5a34a7d33686
	.amdgpu_metadata
---
amdhsa.kernels:
  - .agpr_count:     0
    .args:
      - .offset:         0
        .size:           4
        .value_kind:     by_value
      - .offset:         4
        .size:           4
        .value_kind:     by_value
      - .offset:         8
        .size:           4
        .value_kind:     by_value
      - .offset:         12
        .size:           4
        .value_kind:     by_value
      - .actual_access:  read_only
        .address_space:  global
        .offset:         16
        .size:           8
        .value_kind:     global_buffer
      - .actual_access:  read_only
        .address_space:  global
        .offset:         24
        .size:           8
        .value_kind:     global_buffer
      - .actual_access:  write_only
        .address_space:  global
        .offset:         32
        .size:           8
        .value_kind:     global_buffer
      - .actual_access:  write_only
        .address_space:  global
        .offset:         40
        .size:           8
        .value_kind:     global_buffer
    .group_segment_fixed_size: 12288
    .kernarg_segment_align: 8
    .kernarg_segment_size: 48
    .language:       OpenCL C
    .language_version:
      - 2
      - 0
    .max_flat_workgroup_size: 1024
    .name:           _Z6kernelIfLi1ELi16ELi96ELi3ELi4ELi16EEvT_S0_iiPKS0_S2_PS0_S3_
    .private_segment_fixed_size: 0
    .sgpr_count:     33
    .sgpr_spill_count: 0
    .symbol:         _Z6kernelIfLi1ELi16ELi96ELi3ELi4ELi16EEvT_S0_iiPKS0_S2_PS0_S3_.kd
    .uniform_work_group_size: 1
    .uses_dynamic_stack: false
    .vgpr_count:     23
    .vgpr_spill_count: 0
    .wavefront_size: 64
  - .agpr_count:     0
    .args:
      - .offset:         0
        .size:           8
        .value_kind:     by_value
      - .offset:         8
        .size:           8
        .value_kind:     by_value
      - .offset:         16
        .size:           4
        .value_kind:     by_value
      - .offset:         20
        .size:           4
        .value_kind:     by_value
      - .actual_access:  read_only
        .address_space:  global
        .offset:         24
        .size:           8
        .value_kind:     global_buffer
      - .actual_access:  read_only
        .address_space:  global
        .offset:         32
        .size:           8
        .value_kind:     global_buffer
      - .actual_access:  write_only
        .address_space:  global
        .offset:         40
        .size:           8
        .value_kind:     global_buffer
      - .actual_access:  write_only
        .address_space:  global
        .offset:         48
        .size:           8
        .value_kind:     global_buffer
    .group_segment_fixed_size: 8192
    .kernarg_segment_align: 8
    .kernarg_segment_size: 56
    .language:       OpenCL C
    .language_version:
      - 2
      - 0
    .max_flat_workgroup_size: 1024
    .name:           _Z6kernelIdLi1ELi16ELi32ELi3ELi4ELi16EEvT_S0_iiPKS0_S2_PS0_S3_
    .private_segment_fixed_size: 0
    .sgpr_count:     27
    .sgpr_spill_count: 0
    .symbol:         _Z6kernelIdLi1ELi16ELi32ELi3ELi4ELi16EEvT_S0_iiPKS0_S2_PS0_S3_.kd
    .uniform_work_group_size: 1
    .uses_dynamic_stack: false
    .vgpr_count:     24
    .vgpr_spill_count: 0
    .wavefront_size: 64
amdhsa.target:   amdgcn-amd-amdhsa--gfx90a
amdhsa.version:
  - 1
  - 2
...

	.end_amdgpu_metadata
